;; amdgpu-corpus repo=ROCm/rocFFT kind=compiled arch=gfx950 opt=O3
	.text
	.amdgcn_target "amdgcn-amd-amdhsa--gfx950"
	.amdhsa_code_object_version 6
	.protected	fft_rtc_fwd_len120_factors_6_10_2_wgs_60_tpt_12_halfLds_half_ip_CI_unitstride_sbrr_C2R_dirReg ; -- Begin function fft_rtc_fwd_len120_factors_6_10_2_wgs_60_tpt_12_halfLds_half_ip_CI_unitstride_sbrr_C2R_dirReg
	.globl	fft_rtc_fwd_len120_factors_6_10_2_wgs_60_tpt_12_halfLds_half_ip_CI_unitstride_sbrr_C2R_dirReg
	.p2align	8
	.type	fft_rtc_fwd_len120_factors_6_10_2_wgs_60_tpt_12_halfLds_half_ip_CI_unitstride_sbrr_C2R_dirReg,@function
fft_rtc_fwd_len120_factors_6_10_2_wgs_60_tpt_12_halfLds_half_ip_CI_unitstride_sbrr_C2R_dirReg: ; @fft_rtc_fwd_len120_factors_6_10_2_wgs_60_tpt_12_halfLds_half_ip_CI_unitstride_sbrr_C2R_dirReg
; %bb.0:
	s_load_dwordx2 s[8:9], s[0:1], 0x50
	s_load_dwordx4 s[4:7], s[0:1], 0x0
	s_load_dwordx2 s[10:11], s[0:1], 0x18
	v_mul_u32_u24_e32 v1, 0x1556, v0
	v_lshrrev_b32_e32 v2, 16, v1
	v_mad_u64_u32 v[2:3], s[2:3], s2, 5, v[2:3]
	v_mov_b32_e32 v6, 0
	v_mov_b32_e32 v3, v6
	s_waitcnt lgkmcnt(0)
	v_cmp_lt_u64_e64 s[2:3], s[6:7], 2
	s_and_b64 vcc, exec, s[2:3]
	v_mov_b64_e32 v[4:5], 0
	v_mov_b64_e32 v[10:11], v[2:3]
	s_cbranch_vccnz .LBB0_8
; %bb.1:
	s_load_dwordx2 s[2:3], s[0:1], 0x10
	s_add_u32 s12, s10, 8
	s_addc_u32 s13, s11, 0
	s_mov_b64 s[14:15], 1
	v_mov_b64_e32 v[4:5], 0
	s_waitcnt lgkmcnt(0)
	s_add_u32 s16, s2, 8
	s_addc_u32 s17, s3, 0
	v_mov_b64_e32 v[8:9], v[2:3]
.LBB0_2:                                ; =>This Inner Loop Header: Depth=1
	s_load_dwordx2 s[18:19], s[16:17], 0x0
                                        ; implicit-def: $vgpr10_vgpr11
	s_waitcnt lgkmcnt(0)
	v_or_b32_e32 v7, s19, v9
	v_cmp_ne_u64_e32 vcc, 0, v[6:7]
	s_and_saveexec_b64 s[2:3], vcc
	s_xor_b64 s[20:21], exec, s[2:3]
	s_cbranch_execz .LBB0_4
; %bb.3:                                ;   in Loop: Header=BB0_2 Depth=1
	v_cvt_f32_u32_e32 v1, s18
	v_cvt_f32_u32_e32 v3, s19
	s_sub_u32 s2, 0, s18
	s_subb_u32 s3, 0, s19
	v_fmac_f32_e32 v1, 0x4f800000, v3
	v_rcp_f32_e32 v1, v1
	s_nop 0
	v_mul_f32_e32 v1, 0x5f7ffffc, v1
	v_mul_f32_e32 v3, 0x2f800000, v1
	v_trunc_f32_e32 v3, v3
	v_fmac_f32_e32 v1, 0xcf800000, v3
	v_cvt_u32_f32_e32 v3, v3
	v_cvt_u32_f32_e32 v1, v1
	v_mul_lo_u32 v7, s2, v3
	v_mul_hi_u32 v10, s2, v1
	v_mul_lo_u32 v11, s3, v1
	v_add_u32_e32 v7, v10, v7
	v_mul_lo_u32 v14, s2, v1
	v_add_u32_e32 v7, v7, v11
	v_mul_hi_u32 v10, v1, v14
	v_mul_hi_u32 v13, v1, v7
	v_mul_lo_u32 v12, v1, v7
	v_mov_b32_e32 v11, v6
	v_lshl_add_u64 v[10:11], v[10:11], 0, v[12:13]
	v_mul_hi_u32 v13, v3, v14
	v_mul_lo_u32 v14, v3, v14
	v_add_co_u32_e32 v10, vcc, v10, v14
	v_mul_hi_u32 v12, v3, v7
	s_nop 0
	v_addc_co_u32_e32 v10, vcc, v11, v13, vcc
	v_mov_b32_e32 v11, v6
	s_nop 0
	v_addc_co_u32_e32 v13, vcc, 0, v12, vcc
	v_mul_lo_u32 v12, v3, v7
	v_lshl_add_u64 v[10:11], v[10:11], 0, v[12:13]
	v_add_co_u32_e32 v1, vcc, v1, v10
	v_mul_hi_u32 v10, s2, v1
	s_nop 0
	v_addc_co_u32_e32 v3, vcc, v3, v11, vcc
	v_mul_lo_u32 v7, s2, v3
	v_add_u32_e32 v7, v10, v7
	v_mul_lo_u32 v10, s3, v1
	v_add_u32_e32 v7, v7, v10
	v_mul_lo_u32 v12, s2, v1
	v_mul_hi_u32 v15, v3, v12
	v_mul_lo_u32 v16, v3, v12
	v_mul_hi_u32 v11, v1, v7
	;; [unrolled: 2-line block ×3, first 2 shown]
	v_mov_b32_e32 v13, v6
	v_lshl_add_u64 v[10:11], v[12:13], 0, v[10:11]
	v_add_co_u32_e32 v10, vcc, v10, v16
	v_mul_hi_u32 v14, v3, v7
	s_nop 0
	v_addc_co_u32_e32 v10, vcc, v11, v15, vcc
	v_mul_lo_u32 v12, v3, v7
	s_nop 0
	v_addc_co_u32_e32 v13, vcc, 0, v14, vcc
	v_mov_b32_e32 v11, v6
	v_lshl_add_u64 v[10:11], v[10:11], 0, v[12:13]
	v_add_co_u32_e32 v1, vcc, v1, v10
	v_mul_hi_u32 v12, v8, v1
	s_nop 0
	v_addc_co_u32_e32 v3, vcc, v3, v11, vcc
	v_mad_u64_u32 v[10:11], s[2:3], v8, v3, 0
	v_mov_b32_e32 v13, v6
	v_lshl_add_u64 v[10:11], v[12:13], 0, v[10:11]
	v_mad_u64_u32 v[14:15], s[2:3], v9, v1, 0
	v_add_co_u32_e32 v1, vcc, v10, v14
	v_mad_u64_u32 v[12:13], s[2:3], v9, v3, 0
	s_nop 0
	v_addc_co_u32_e32 v10, vcc, v11, v15, vcc
	v_mov_b32_e32 v11, v6
	s_nop 0
	v_addc_co_u32_e32 v13, vcc, 0, v13, vcc
	v_lshl_add_u64 v[10:11], v[10:11], 0, v[12:13]
	v_mul_lo_u32 v1, s19, v10
	v_mul_lo_u32 v3, s18, v11
	v_mad_u64_u32 v[12:13], s[2:3], s18, v10, 0
	v_add3_u32 v1, v13, v3, v1
	v_sub_u32_e32 v3, v9, v1
	v_mov_b32_e32 v7, s19
	v_sub_co_u32_e32 v16, vcc, v8, v12
	v_lshl_add_u64 v[14:15], v[10:11], 0, 1
	s_nop 0
	v_subb_co_u32_e64 v3, s[2:3], v3, v7, vcc
	v_subrev_co_u32_e64 v7, s[2:3], s18, v16
	v_subb_co_u32_e32 v1, vcc, v9, v1, vcc
	s_nop 0
	v_subbrev_co_u32_e64 v3, s[2:3], 0, v3, s[2:3]
	v_cmp_le_u32_e64 s[2:3], s19, v3
	v_cmp_le_u32_e32 vcc, s19, v1
	s_nop 0
	v_cndmask_b32_e64 v12, 0, -1, s[2:3]
	v_cmp_le_u32_e64 s[2:3], s18, v7
	s_nop 1
	v_cndmask_b32_e64 v7, 0, -1, s[2:3]
	v_cmp_eq_u32_e64 s[2:3], s19, v3
	s_nop 1
	v_cndmask_b32_e64 v3, v12, v7, s[2:3]
	v_lshl_add_u64 v[12:13], v[10:11], 0, 2
	v_cmp_ne_u32_e64 s[2:3], 0, v3
	v_cndmask_b32_e64 v7, 0, -1, vcc
	v_cmp_le_u32_e32 vcc, s18, v16
	v_cndmask_b32_e64 v3, v15, v13, s[2:3]
	s_nop 0
	v_cndmask_b32_e64 v13, 0, -1, vcc
	v_cmp_eq_u32_e32 vcc, s19, v1
	s_nop 1
	v_cndmask_b32_e32 v1, v7, v13, vcc
	v_cmp_ne_u32_e32 vcc, 0, v1
	v_cndmask_b32_e64 v1, v14, v12, s[2:3]
	s_nop 0
	v_cndmask_b32_e32 v11, v11, v3, vcc
	v_cndmask_b32_e32 v10, v10, v1, vcc
.LBB0_4:                                ;   in Loop: Header=BB0_2 Depth=1
	s_andn2_saveexec_b64 s[2:3], s[20:21]
	s_cbranch_execz .LBB0_6
; %bb.5:                                ;   in Loop: Header=BB0_2 Depth=1
	v_cvt_f32_u32_e32 v1, s18
	s_sub_i32 s20, 0, s18
	v_mov_b32_e32 v11, v6
	v_rcp_iflag_f32_e32 v1, v1
	s_nop 0
	v_mul_f32_e32 v1, 0x4f7ffffe, v1
	v_cvt_u32_f32_e32 v1, v1
	v_mul_lo_u32 v3, s20, v1
	v_mul_hi_u32 v3, v1, v3
	v_add_u32_e32 v1, v1, v3
	v_mul_hi_u32 v1, v8, v1
	v_mul_lo_u32 v3, v1, s18
	v_sub_u32_e32 v3, v8, v3
	v_add_u32_e32 v7, 1, v1
	v_subrev_u32_e32 v10, s18, v3
	v_cmp_le_u32_e32 vcc, s18, v3
	s_nop 1
	v_cndmask_b32_e32 v3, v3, v10, vcc
	v_cndmask_b32_e32 v1, v1, v7, vcc
	v_add_u32_e32 v7, 1, v1
	v_cmp_le_u32_e32 vcc, s18, v3
	s_nop 1
	v_cndmask_b32_e32 v10, v1, v7, vcc
.LBB0_6:                                ;   in Loop: Header=BB0_2 Depth=1
	s_or_b64 exec, exec, s[2:3]
	v_mad_u64_u32 v[12:13], s[2:3], v10, s18, 0
	s_load_dwordx2 s[2:3], s[12:13], 0x0
	s_add_u32 s14, s14, 1
	v_mul_lo_u32 v1, v11, s18
	v_mul_lo_u32 v3, v10, s19
	s_addc_u32 s15, s15, 0
	v_add3_u32 v1, v13, v3, v1
	v_sub_co_u32_e32 v3, vcc, v8, v12
	s_add_u32 s12, s12, 8
	s_nop 0
	v_subb_co_u32_e32 v1, vcc, v9, v1, vcc
	s_addc_u32 s13, s13, 0
	v_mov_b64_e32 v[8:9], s[6:7]
	s_waitcnt lgkmcnt(0)
	v_mul_lo_u32 v1, s2, v1
	v_mul_lo_u32 v7, s3, v3
	v_mad_u64_u32 v[4:5], s[2:3], s2, v3, v[4:5]
	s_add_u32 s16, s16, 8
	v_cmp_ge_u64_e32 vcc, s[14:15], v[8:9]
	v_add3_u32 v5, v7, v5, v1
	s_addc_u32 s17, s17, 0
	s_cbranch_vccnz .LBB0_8
; %bb.7:                                ;   in Loop: Header=BB0_2 Depth=1
	v_mov_b64_e32 v[8:9], v[10:11]
	s_branch .LBB0_2
.LBB0_8:
	s_lshl_b64 s[2:3], s[6:7], 3
	s_add_u32 s2, s10, s2
	s_addc_u32 s3, s11, s3
	s_load_dwordx2 s[6:7], s[2:3], 0x0
	s_load_dwordx2 s[10:11], s[0:1], 0x20
	s_waitcnt lgkmcnt(0)
	v_mad_u64_u32 v[6:7], s[0:1], s6, v10, v[4:5]
	v_mul_lo_u32 v1, s6, v11
	v_mul_lo_u32 v3, s7, v10
	s_mov_b32 s0, 0xcccccccd
	v_add3_u32 v7, v3, v7, v1
	v_mul_hi_u32 v1, v2, s0
	v_lshrrev_b32_e32 v1, 2, v1
	v_lshl_add_u32 v1, v1, 2, v1
	v_sub_u32_e32 v1, v2, v1
	s_mov_b32 s0, 0x15555556
	v_mul_u32_u24_e32 v20, 0x79, v1
	v_mul_hi_u32 v1, v0, s0
	v_mul_u32_u24_e32 v1, 12, v1
	v_sub_u32_e32 v4, v0, v1
	v_cmp_gt_u64_e32 vcc, s[10:11], v[10:11]
	v_mov_b32_e32 v5, 0
	v_lshl_add_u64 v[0:1], v[6:7], 2, s[8:9]
	v_lshlrev_b32_e32 v17, 2, v20
	v_mov_b32_e32 v2, v4
	s_and_saveexec_b64 s[2:3], vcc
	s_cbranch_execz .LBB0_12
; %bb.9:
	v_lshl_add_u64 v[2:3], v[4:5], 2, v[0:1]
	global_load_dword v6, v[2:3], off
	global_load_dword v7, v[2:3], off offset:48
	global_load_dword v8, v[2:3], off offset:96
	;; [unrolled: 1-line block ×9, first 2 shown]
	v_lshlrev_b32_e32 v2, 2, v4
	v_add3_u32 v2, 0, v17, v2
	v_cmp_eq_u32_e64 s[0:1], 11, v4
	s_waitcnt vmcnt(8)
	ds_write2_b32 v2, v6, v7 offset1:12
	s_waitcnt vmcnt(6)
	ds_write2_b32 v2, v8, v9 offset0:24 offset1:36
	s_waitcnt vmcnt(4)
	ds_write2_b32 v2, v10, v11 offset0:48 offset1:60
	;; [unrolled: 2-line block ×4, first 2 shown]
	v_mov_b64_e32 v[6:7], v[4:5]
	s_and_saveexec_b64 s[6:7], s[0:1]
	s_cbranch_execz .LBB0_11
; %bb.10:
	global_load_dword v3, v[0:1], off offset:480
	v_mov_b32_e32 v4, 11
	v_mov_b64_e32 v[6:7], 11
	s_waitcnt vmcnt(0)
	ds_write_b32 v2, v3 offset:436
.LBB0_11:
	s_or_b64 exec, exec, s[6:7]
	v_mov_b32_e32 v2, v4
	v_mov_b64_e32 v[4:5], v[6:7]
.LBB0_12:
	s_or_b64 exec, exec, s[2:3]
	v_lshl_add_u32 v16, v20, 2, 0
	v_lshlrev_b32_e32 v3, 2, v2
	v_add_u32_e32 v18, v16, v3
	s_waitcnt lgkmcnt(0)
	; wave barrier
	s_waitcnt lgkmcnt(0)
	v_sub_u32_e32 v6, v16, v3
	ds_read_u16 v3, v18
	ds_read_u16 v9, v6 offset:480
	v_cmp_ne_u32_e64 s[0:1], 0, v2
	v_lshl_add_u64 v[4:5], v[4:5], 2, s[4:5]
	s_waitcnt lgkmcnt(0)
	v_add_f16_e32 v7, v9, v3
	v_sub_f16_e32 v8, v3, v9
	s_and_saveexec_b64 s[2:3], s[0:1]
	s_xor_b64 s[0:1], exec, s[2:3]
	s_cbranch_execz .LBB0_14
; %bb.13:
	global_load_dword v10, v[4:5], off offset:456
	ds_read_u16 v7, v6 offset:482
	ds_read_u16 v8, v18 offset:2
	v_add_f16_e32 v11, v9, v3
	v_sub_f16_e32 v3, v3, v9
	s_waitcnt lgkmcnt(0)
	v_add_f16_e32 v9, v7, v8
	v_sub_f16_e32 v7, v8, v7
	s_waitcnt vmcnt(0)
	v_lshrrev_b32_e32 v8, 16, v10
	v_fma_f16 v12, v3, v8, v11
	v_fma_f16 v13, v9, v8, v7
	v_fma_f16 v11, -v3, v8, v11
	v_fma_f16 v14, v9, v8, -v7
	v_fma_f16 v7, -v10, v9, v12
	v_fma_f16 v8, v3, v10, v13
	v_fma_f16 v9, v10, v9, v11
	;; [unrolled: 1-line block ×3, first 2 shown]
	v_pack_b32_f16 v3, v9, v3
	ds_write_b32 v6, v3 offset:480
.LBB0_14:
	s_andn2_saveexec_b64 s[0:1], s[0:1]
	s_cbranch_execz .LBB0_16
; %bb.15:
	ds_read_b32 v3, v16 offset:240
	s_mov_b32 s2, 0xc0004000
	s_waitcnt lgkmcnt(0)
	v_pk_mul_f16 v3, v3, s2
	ds_write_b32 v16, v3 offset:240
.LBB0_16:
	s_or_b64 exec, exec, s[0:1]
	s_add_u32 s0, s4, 0x1c8
	s_addc_u32 s1, s5, 0
	v_mov_b32_e32 v3, 0
	v_lshl_add_u64 v[10:11], v[2:3], 2, s[0:1]
	global_load_dword v9, v[10:11], off offset:48
	global_load_dword v12, v[10:11], off offset:96
	;; [unrolled: 1-line block ×4, first 2 shown]
	s_mov_b32 s0, 0x5040100
	v_perm_b32 v7, v8, v7, s0
	ds_write_b32 v18, v7
	ds_read_b32 v7, v18 offset:48
	ds_read_b32 v8, v6 offset:432
	s_movk_i32 s7, 0x3aee
	s_mov_b32 s6, 0xffff
	s_mov_b32 s8, 0xbaee3aee
	v_cmp_gt_u32_e64 s[0:1], 8, v2
	s_waitcnt lgkmcnt(0)
	v_add_f16_e32 v10, v7, v8
	v_add_f16_sdwa v11, v8, v7 dst_sel:DWORD dst_unused:UNUSED_PAD src0_sel:WORD_1 src1_sel:WORD_1
	v_sub_f16_e32 v15, v7, v8
	v_sub_f16_sdwa v7, v7, v8 dst_sel:DWORD dst_unused:UNUSED_PAD src0_sel:WORD_1 src1_sel:WORD_1
	s_waitcnt vmcnt(3)
	v_lshrrev_b32_e32 v8, 16, v9
	v_fma_f16 v19, v15, v8, v10
	v_fma_f16 v21, v11, v8, v7
	v_fma_f16 v10, -v15, v8, v10
	v_fma_f16 v7, v11, v8, -v7
	v_fma_f16 v8, -v9, v11, v19
	v_fma_f16 v19, v15, v9, v21
	v_fma_f16 v10, v9, v11, v10
	;; [unrolled: 1-line block ×3, first 2 shown]
	v_pack_b32_f16 v8, v8, v19
	v_pack_b32_f16 v7, v10, v7
	ds_write_b32 v18, v8 offset:48
	ds_write_b32 v6, v7 offset:432
	ds_read_b32 v7, v18 offset:96
	ds_read_b32 v8, v6 offset:384
	s_waitcnt vmcnt(2)
	v_lshrrev_b32_e32 v9, 16, v12
	s_waitcnt lgkmcnt(0)
	v_add_f16_e32 v10, v7, v8
	v_add_f16_sdwa v11, v8, v7 dst_sel:DWORD dst_unused:UNUSED_PAD src0_sel:WORD_1 src1_sel:WORD_1
	v_sub_f16_e32 v15, v7, v8
	v_sub_f16_sdwa v7, v7, v8 dst_sel:DWORD dst_unused:UNUSED_PAD src0_sel:WORD_1 src1_sel:WORD_1
	v_fma_f16 v8, v15, v9, v10
	v_fma_f16 v19, v11, v9, v7
	v_fma_f16 v10, -v15, v9, v10
	v_fma_f16 v7, v11, v9, -v7
	v_fma_f16 v8, -v12, v11, v8
	v_fma_f16 v9, v15, v12, v19
	v_fma_f16 v10, v12, v11, v10
	;; [unrolled: 1-line block ×3, first 2 shown]
	v_pack_b32_f16 v8, v8, v9
	v_pack_b32_f16 v7, v10, v7
	ds_write_b32 v18, v8 offset:96
	ds_write_b32 v6, v7 offset:384
	ds_read_b32 v7, v18 offset:144
	ds_read_b32 v8, v6 offset:336
	s_waitcnt vmcnt(1)
	v_lshrrev_b32_e32 v10, 16, v13
	v_lshl_add_u32 v9, v2, 2, 0
	v_mad_u32_u24 v21, v2, 20, v9
	v_add_u32_e32 v23, v21, v17
	s_waitcnt lgkmcnt(0)
	v_add_f16_e32 v11, v7, v8
	v_add_f16_sdwa v12, v8, v7 dst_sel:DWORD dst_unused:UNUSED_PAD src0_sel:WORD_1 src1_sel:WORD_1
	v_sub_f16_e32 v15, v7, v8
	v_sub_f16_sdwa v7, v7, v8 dst_sel:DWORD dst_unused:UNUSED_PAD src0_sel:WORD_1 src1_sel:WORD_1
	v_fma_f16 v8, v15, v10, v11
	v_fma_f16 v19, v12, v10, v7
	v_fma_f16 v11, -v15, v10, v11
	v_fma_f16 v7, v12, v10, -v7
	v_fma_f16 v8, -v13, v12, v8
	v_fma_f16 v10, v15, v13, v19
	v_fma_f16 v11, v13, v12, v11
	;; [unrolled: 1-line block ×3, first 2 shown]
	v_pack_b32_f16 v8, v8, v10
	v_pack_b32_f16 v7, v11, v7
	ds_write_b32 v18, v8 offset:144
	ds_write_b32 v6, v7 offset:336
	ds_read_b32 v7, v18 offset:192
	ds_read_b32 v8, v6 offset:288
	v_add_u32_e32 v19, v9, v17
	s_waitcnt vmcnt(0)
	v_lshrrev_b32_e32 v9, 16, v14
	s_waitcnt lgkmcnt(0)
	v_add_f16_e32 v10, v7, v8
	v_add_f16_sdwa v11, v8, v7 dst_sel:DWORD dst_unused:UNUSED_PAD src0_sel:WORD_1 src1_sel:WORD_1
	v_sub_f16_e32 v12, v7, v8
	v_sub_f16_sdwa v7, v7, v8 dst_sel:DWORD dst_unused:UNUSED_PAD src0_sel:WORD_1 src1_sel:WORD_1
	v_fma_f16 v8, v12, v9, v10
	v_fma_f16 v13, v11, v9, v7
	v_fma_f16 v10, -v12, v9, v10
	v_fma_f16 v7, v11, v9, -v7
	v_fma_f16 v8, -v14, v11, v8
	v_fma_f16 v9, v12, v14, v13
	v_fma_f16 v10, v14, v11, v10
	;; [unrolled: 1-line block ×3, first 2 shown]
	v_pack_b32_f16 v8, v8, v9
	v_pack_b32_f16 v7, v10, v7
	ds_write_b32 v18, v8 offset:192
	ds_write_b32 v6, v7 offset:288
	s_waitcnt lgkmcnt(0)
	; wave barrier
	s_waitcnt lgkmcnt(0)
	s_waitcnt lgkmcnt(0)
	; wave barrier
	s_waitcnt lgkmcnt(0)
	ds_read2_b32 v[6:7], v19 offset0:12 offset1:20
	ds_read2_b32 v[12:13], v19 offset0:32 offset1:40
	;; [unrolled: 1-line block ×3, first 2 shown]
	ds_read_b32 v22, v19 offset:448
	ds_read_b32 v24, v18
	ds_read2_b32 v[14:15], v19 offset0:72 offset1:80
	ds_read2_b32 v[10:11], v19 offset0:92 offset1:100
	s_waitcnt lgkmcnt(4)
	v_pk_add_f16 v26, v7, v9
	s_waitcnt lgkmcnt(0)
	v_pk_add_f16 v25, v24, v13
	v_pk_add_f16 v27, v13, v15
	v_pk_add_f16 v13, v13, v15 neg_lo:[0,1] neg_hi:[0,1]
	v_pk_add_f16 v28, v9, v11
	v_pk_add_f16 v9, v9, v11 neg_lo:[0,1] neg_hi:[0,1]
	v_pk_fma_f16 v24, v27, 0.5, v24 op_sel_hi:[1,0,1] neg_lo:[1,0,0] neg_hi:[1,0,0]
	v_pk_mul_f16 v13, v13, s7 op_sel_hi:[1,0]
	v_pk_fma_f16 v7, v28, 0.5, v7 op_sel_hi:[1,0,1] neg_lo:[1,0,0] neg_hi:[1,0,0]
	v_pk_add_f16 v11, v26, v11
	v_pk_add_f16 v26, v24, v13 op_sel:[0,1] op_sel_hi:[1,0]
	v_pk_add_f16 v13, v24, v13 op_sel:[0,1] op_sel_hi:[1,0] neg_lo:[0,1] neg_hi:[0,1]
	v_pk_fma_f16 v24, v9, s7, v7 op_sel:[0,0,1] op_sel_hi:[1,0,0]
	v_pk_fma_f16 v7, v9, s7, v7 op_sel:[0,0,1] op_sel_hi:[1,0,0] neg_lo:[1,0,0] neg_hi:[1,0,0]
	v_lshrrev_b32_e32 v27, 16, v24
	v_bfi_b32 v24, s6, v24, v7
	v_mul_f16_e32 v28, 0x3aee, v7
	v_fma_f16 v28, v27, 0.5, v28
	v_mul_f16_e32 v27, 0xbaee, v27
	v_pk_mul_f16 v30, v24, 0.5 op_sel_hi:[1,0]
	v_fma_f16 v7, v7, 0.5, v27
	v_pk_fma_f16 v24, v24, s8, v30 op_sel:[0,0,1] op_sel_hi:[1,1,0] neg_lo:[0,0,1] neg_hi:[0,0,1]
	v_pk_add_f16 v15, v25, v15
	v_bfi_b32 v9, s6, v13, v26
	v_add_f16_sdwa v27, v13, v7 dst_sel:DWORD dst_unused:UNUSED_PAD src0_sel:WORD_1 src1_sel:DWORD
	v_pack_b32_f16 v7, v7, v24
	v_pk_add_f16 v25, v15, v11
	v_add_f16_e32 v29, v26, v28
	v_pk_add_f16 v9, v9, v24
	v_sub_f16_e32 v28, v26, v28
	v_sub_f16_sdwa v26, v26, v24 dst_sel:DWORD dst_unused:UNUSED_PAD src0_sel:WORD_1 src1_sel:WORD_1
	v_pk_add_f16 v11, v15, v11 neg_lo:[0,1] neg_hi:[0,1]
	v_pk_add_f16 v7, v13, v7 op_sel:[1,0] op_sel_hi:[0,1] neg_lo:[0,1] neg_hi:[0,1]
	; wave barrier
	v_pack_b32_f16 v27, v29, v27
	ds_write2_b32 v23, v9, v11 offset0:2 offset1:3
	v_alignbit_b32 v9, v26, v7, 16
	v_pack_b32_f16 v7, v28, v7
	ds_write2_b32 v23, v25, v27 offset1:1
	ds_write2_b32 v23, v7, v9 offset0:4 offset1:5
	s_and_saveexec_b64 s[2:3], s[0:1]
	s_cbranch_execz .LBB0_18
; %bb.17:
	v_pk_add_f16 v9, v12, v14
	v_pk_add_f16 v15, v14, v22 neg_lo:[0,1] neg_hi:[0,1]
	v_pk_add_f16 v14, v14, v22
	v_pk_add_f16 v7, v6, v8
	v_pk_fma_f16 v12, v14, 0.5, v12 op_sel_hi:[1,0,1] neg_lo:[1,0,0] neg_hi:[1,0,0]
	v_lshl_add_u32 v11, v20, 2, v21
	v_pk_fma_f16 v14, v15, s7, v12 op_sel:[0,0,1] op_sel_hi:[1,0,0]
	v_pk_fma_f16 v12, v15, s7, v12 op_sel:[0,0,1] op_sel_hi:[1,0,0] neg_lo:[1,0,0] neg_hi:[1,0,0]
	v_pk_add_f16 v9, v9, v22
	v_bfi_b32 v15, s6, v14, v12
	v_lshrrev_b32_e32 v14, 16, v14
	v_pk_add_f16 v20, v8, v10
	v_pk_add_f16 v8, v8, v10 neg_lo:[0,1] neg_hi:[0,1]
	v_mul_f16_e32 v22, 0xbaee, v14
	v_pk_fma_f16 v6, v20, 0.5, v6 op_sel_hi:[1,0,1] neg_lo:[1,0,0] neg_hi:[1,0,0]
	v_pk_mul_f16 v8, v8, s7 op_sel_hi:[1,0]
	v_pk_mul_f16 v20, v15, 0.5 op_sel_hi:[1,0]
	v_fma_f16 v22, v12, 0.5, v22
	v_mul_f16_e32 v12, 0x3aee, v12
	v_pk_add_f16 v7, v7, v10
	v_pk_add_f16 v10, v6, v8 op_sel:[0,1] op_sel_hi:[1,0] neg_lo:[0,1] neg_hi:[0,1]
	v_pk_add_f16 v6, v6, v8 op_sel:[0,1] op_sel_hi:[1,0]
	v_pk_fma_f16 v15, v15, s8, v20 op_sel:[0,0,1] op_sel_hi:[1,1,0] neg_lo:[0,0,1] neg_hi:[0,0,1]
	v_fma_f16 v12, v14, 0.5, v12
	v_bfi_b32 v8, s6, v10, v6
	v_sub_f16_sdwa v20, v6, v15 dst_sel:DWORD dst_unused:UNUSED_PAD src0_sel:WORD_1 src1_sel:WORD_1
	v_sub_f16_e32 v14, v6, v12
	v_add_f16_sdwa v23, v10, v22 dst_sel:DWORD dst_unused:UNUSED_PAD src0_sel:WORD_1 src1_sel:DWORD
	v_add_f16_e32 v6, v6, v12
	v_pk_add_f16 v13, v7, v9
	v_pack_b32_f16 v6, v6, v23
	v_pk_add_f16 v8, v8, v15
	ds_write2_b32 v11, v13, v6 offset0:72 offset1:73
	v_pk_add_f16 v6, v7, v9 neg_lo:[0,1] neg_hi:[0,1]
	ds_write2_b32 v11, v8, v6 offset0:74 offset1:75
	v_pack_b32_f16 v6, v22, v15
	v_pk_add_f16 v6, v10, v6 op_sel:[1,0] op_sel_hi:[0,1] neg_lo:[0,1] neg_hi:[0,1]
	v_alignbit_b32 v7, v20, v6, 16
	v_pack_b32_f16 v6, v14, v6
	ds_write2_b32 v11, v6, v7 offset0:76 offset1:77
.LBB0_18:
	s_or_b64 exec, exec, s[2:3]
	v_add_u32_e32 v6, -6, v2
	v_cmp_gt_u32_e64 s[0:1], 6, v2
	v_mov_b32_e32 v7, v3
	s_waitcnt lgkmcnt(0)
	v_cndmask_b32_e64 v26, v6, v2, s[0:1]
	v_mul_i32_i24_e32 v6, 9, v26
	v_lshl_add_u64 v[14:15], v[6:7], 2, s[4:5]
	; wave barrier
	global_load_dwordx4 v[6:9], v[14:15], off
	global_load_dwordx4 v[10:13], v[14:15], off offset:16
	global_load_dword v27, v[14:15], off offset:32
	ds_read2_b32 v[14:15], v19 offset0:60 offset1:72
	v_mul_i32_i24_e32 v20, 0xffffffec, v2
	v_add3_u32 v28, v21, v20, v17
	ds_read_b32 v29, v18
	ds_read2_b32 v[20:21], v28 offset0:12 offset1:24
	ds_read2_b32 v[22:23], v28 offset0:36 offset1:48
	;; [unrolled: 1-line block ×3, first 2 shown]
	ds_read_b32 v30, v28 offset:432
	s_movk_i32 s0, 0x3b9c
	s_waitcnt lgkmcnt(5)
	v_lshrrev_b32_e32 v32, 16, v15
	s_waitcnt lgkmcnt(2)
	v_lshrrev_b32_e32 v40, 16, v23
	v_lshrrev_b32_e32 v33, 16, v14
	s_waitcnt lgkmcnt(1)
	v_lshrrev_b32_e32 v35, 16, v25
	v_lshrrev_b32_e32 v38, 16, v21
	;; [unrolled: 1-line block ×3, first 2 shown]
	s_waitcnt lgkmcnt(0)
	v_lshrrev_b32_e32 v36, 16, v30
	v_lshrrev_b32_e32 v37, 16, v20
	s_mov_b32 s3, 0xbb9c
	s_movk_i32 s1, 0x38b4
	s_mov_b32 s7, 0xb8b4
	v_lshrrev_b32_e32 v31, 16, v29
	v_lshrrev_b32_e32 v39, 16, v22
	s_movk_i32 s2, 0x34f2
	s_movk_i32 s8, 0x3a79
	s_waitcnt lgkmcnt(0)
	; wave barrier
	s_waitcnt vmcnt(2)
	v_mul_f16_sdwa v47, v9, v40 dst_sel:DWORD dst_unused:UNUSED_PAD src0_sel:WORD_1 src1_sel:DWORD
	s_waitcnt vmcnt(1)
	v_mul_f16_sdwa v51, v32, v11 dst_sel:DWORD dst_unused:UNUSED_PAD src0_sel:DWORD src1_sel:WORD_1
	v_mul_f16_sdwa v43, v7, v38 dst_sel:DWORD dst_unused:UNUSED_PAD src0_sel:WORD_1 src1_sel:DWORD
	v_mul_f16_sdwa v44, v7, v21 dst_sel:DWORD dst_unused:UNUSED_PAD src0_sel:WORD_1 src1_sel:DWORD
	;; [unrolled: 1-line block ×5, first 2 shown]
	v_mul_f16_sdwa v52, v15, v11 dst_sel:DWORD dst_unused:UNUSED_PAD src0_sel:DWORD src1_sel:WORD_1
	v_mul_f16_sdwa v55, v35, v13 dst_sel:DWORD dst_unused:UNUSED_PAD src0_sel:DWORD src1_sel:WORD_1
	v_mul_f16_sdwa v56, v25, v13 dst_sel:DWORD dst_unused:UNUSED_PAD src0_sel:DWORD src1_sel:WORD_1
	v_fma_f16 v23, v9, v23, -v47
	v_fma_f16 v15, v15, v11, -v51
	v_mul_f16_sdwa v41, v6, v37 dst_sel:DWORD dst_unused:UNUSED_PAD src0_sel:WORD_1 src1_sel:DWORD
	v_mul_f16_sdwa v42, v6, v20 dst_sel:DWORD dst_unused:UNUSED_PAD src0_sel:WORD_1 src1_sel:DWORD
	v_mul_f16_sdwa v53, v34, v12 dst_sel:DWORD dst_unused:UNUSED_PAD src0_sel:DWORD src1_sel:WORD_1
	v_mul_f16_sdwa v54, v24, v12 dst_sel:DWORD dst_unused:UNUSED_PAD src0_sel:DWORD src1_sel:WORD_1
	s_waitcnt vmcnt(0)
	v_mul_f16_sdwa v57, v36, v27 dst_sel:DWORD dst_unused:UNUSED_PAD src0_sel:DWORD src1_sel:WORD_1
	v_mul_f16_sdwa v58, v30, v27 dst_sel:DWORD dst_unused:UNUSED_PAD src0_sel:DWORD src1_sel:WORD_1
	v_fma_f16 v21, v7, v21, -v43
	v_fma_f16 v7, v7, v38, v44
	v_fma_f16 v14, v10, v14, -v49
	v_fma_f16 v10, v10, v33, v50
	;; [unrolled: 2-line block ×3, first 2 shown]
	v_add_f16_e32 v33, v23, v15
	v_fma_f16 v20, v6, v20, -v41
	v_fma_f16 v6, v6, v37, v42
	v_fma_f16 v9, v9, v40, v48
	v_fma_f16 v11, v32, v11, v52
	v_fma_f16 v24, v24, v12, -v53
	v_fma_f16 v12, v34, v12, v54
	v_fma_f16 v30, v30, v27, -v57
	v_fma_f16 v27, v36, v27, v58
	v_sub_f16_e32 v34, v7, v13
	v_sub_f16_e32 v36, v21, v23
	;; [unrolled: 1-line block ×3, first 2 shown]
	v_add_f16_e32 v38, v21, v25
	v_fma_f16 v33, v33, -0.5, v29
	v_add_f16_e32 v32, v29, v21
	v_sub_f16_e32 v35, v9, v11
	v_add_f16_e32 v36, v36, v37
	v_fma_f16 v29, v38, -0.5, v29
	v_fma_f16 v37, v34, s0, v33
	v_fma_f16 v33, v34, s3, v33
	v_mul_f16_sdwa v45, v8, v39 dst_sel:DWORD dst_unused:UNUSED_PAD src0_sel:WORD_1 src1_sel:DWORD
	v_mul_f16_sdwa v46, v8, v22 dst_sel:DWORD dst_unused:UNUSED_PAD src0_sel:WORD_1 src1_sel:DWORD
	v_add_f16_e32 v32, v32, v23
	v_fma_f16 v38, v35, s3, v29
	v_fma_f16 v37, v35, s1, v37
	;; [unrolled: 1-line block ×4, first 2 shown]
	v_add_f16_e32 v35, v9, v11
	v_fma_f16 v22, v8, v22, -v45
	v_fma_f16 v8, v8, v39, v46
	v_add_f16_e32 v32, v32, v15
	v_fma_f16 v37, v36, s2, v37
	v_fma_f16 v33, v36, s2, v33
	v_sub_f16_e32 v36, v23, v21
	v_sub_f16_e32 v39, v15, v25
	v_fma_f16 v35, v35, -0.5, v31
	v_sub_f16_e32 v21, v21, v25
	v_add_f16_e32 v32, v32, v25
	v_fma_f16 v38, v34, s1, v38
	v_add_f16_e32 v36, v36, v39
	v_fma_f16 v29, v34, s7, v29
	v_fma_f16 v25, v21, s3, v35
	v_sub_f16_e32 v15, v23, v15
	v_fma_f16 v38, v36, s2, v38
	v_fma_f16 v29, v36, s2, v29
	;; [unrolled: 1-line block ×3, first 2 shown]
	v_sub_f16_e32 v25, v7, v9
	v_sub_f16_e32 v36, v13, v11
	v_fma_f16 v35, v21, s0, v35
	v_add_f16_e32 v34, v31, v7
	v_add_f16_e32 v25, v25, v36
	v_fma_f16 v35, v15, s1, v35
	v_add_f16_e32 v34, v34, v9
	v_fma_f16 v23, v25, s2, v23
	v_fma_f16 v25, v25, s2, v35
	v_add_f16_e32 v35, v7, v13
	v_add_f16_e32 v34, v34, v11
	v_fma_f16 v31, v35, -0.5, v31
	v_add_f16_e32 v34, v34, v13
	v_fma_f16 v35, v15, s0, v31
	v_sub_f16_e32 v7, v9, v7
	v_sub_f16_e32 v9, v11, v13
	v_add_f16_e32 v13, v14, v24
	v_fma_f16 v35, v21, s7, v35
	v_add_f16_e32 v7, v7, v9
	v_fma_f16 v11, v15, s3, v31
	v_fma_f16 v13, v13, -0.5, v20
	v_sub_f16_e32 v15, v8, v27
	v_fma_f16 v9, v7, s2, v35
	v_fma_f16 v11, v21, s1, v11
	v_fma_f16 v21, v15, s0, v13
	v_sub_f16_e32 v31, v10, v12
	v_sub_f16_e32 v35, v22, v14
	;; [unrolled: 1-line block ×3, first 2 shown]
	v_fma_f16 v13, v15, s3, v13
	v_fma_f16 v21, v31, s1, v21
	v_add_f16_e32 v35, v35, v36
	v_fma_f16 v13, v31, s7, v13
	v_fma_f16 v21, v35, s2, v21
	;; [unrolled: 1-line block ×3, first 2 shown]
	v_add_f16_e32 v35, v22, v30
	v_fma_f16 v7, v7, s2, v11
	v_add_f16_e32 v11, v20, v22
	v_fma_f16 v20, v35, -0.5, v20
	v_add_f16_e32 v11, v11, v14
	v_fma_f16 v35, v31, s3, v20
	v_fma_f16 v20, v31, s0, v20
	v_add_f16_e32 v31, v10, v12
	v_add_f16_e32 v11, v11, v24
	v_sub_f16_e32 v36, v14, v22
	v_sub_f16_e32 v39, v24, v30
	v_fma_f16 v31, v31, -0.5, v6
	v_sub_f16_e32 v22, v22, v30
	v_add_f16_e32 v11, v11, v30
	v_fma_f16 v35, v15, s1, v35
	v_add_f16_e32 v36, v36, v39
	v_fma_f16 v15, v15, s7, v20
	v_fma_f16 v30, v22, s3, v31
	v_sub_f16_e32 v14, v14, v24
	v_fma_f16 v35, v36, s2, v35
	v_fma_f16 v15, v36, s2, v15
	;; [unrolled: 1-line block ×3, first 2 shown]
	v_sub_f16_e32 v30, v8, v10
	v_sub_f16_e32 v36, v27, v12
	v_fma_f16 v31, v22, s0, v31
	v_add_f16_e32 v30, v30, v36
	v_fma_f16 v31, v14, s1, v31
	v_fma_f16 v24, v30, s2, v24
	;; [unrolled: 1-line block ×3, first 2 shown]
	v_add_f16_e32 v31, v8, v27
	v_add_f16_e32 v20, v6, v8
	v_fma_f16 v6, v31, -0.5, v6
	v_add_f16_e32 v20, v20, v10
	v_fma_f16 v31, v14, s0, v6
	v_sub_f16_e32 v8, v10, v8
	v_sub_f16_e32 v10, v12, v27
	v_fma_f16 v31, v22, s7, v31
	v_add_f16_e32 v8, v8, v10
	v_fma_f16 v10, v8, s2, v31
	v_fma_f16 v6, v14, s3, v6
	;; [unrolled: 1-line block ×3, first 2 shown]
	v_mul_f16_e32 v22, 0x3b9c, v10
	v_fma_f16 v22, v35, s2, v22
	v_mul_f16_e32 v35, 0xbb9c, v35
	v_add_f16_e32 v20, v20, v12
	v_fma_f16 v6, v8, s2, v6
	v_mul_f16_e32 v12, 0x38b4, v24
	v_mul_f16_e32 v31, 0x34f2, v15
	;; [unrolled: 1-line block ×3, first 2 shown]
	v_fma_f16 v10, v10, s2, v35
	v_fma_f16 v12, v21, s8, v12
	v_fma_f16 v31, v6, s0, -v31
	v_fma_f16 v39, v30, s1, -v39
	v_mul_f16_e32 v21, 0xb8b4, v21
	v_add_f16_e32 v35, v9, v10
	v_mul_f16_e32 v6, 0x34f2, v6
	v_mul_f16_e32 v30, 0x3a79, v30
	v_sub_f16_e32 v9, v9, v10
	v_mov_b32_e32 v10, 0xf0
	v_cmp_lt_u32_e64 s[0:1], 5, v2
	v_add_f16_e32 v20, v20, v27
	v_fma_f16 v21, v24, s8, v21
	v_fma_f16 v6, v15, s3, -v6
	v_fma_f16 v13, v13, s7, -v30
	v_cndmask_b32_e64 v10, 0, v10, s[0:1]
	v_add_f16_e32 v8, v32, v11
	v_add_f16_e32 v14, v37, v12
	v_add_f16_e32 v41, v34, v20
	v_add_f16_e32 v24, v23, v21
	v_add_f16_e32 v15, v7, v6
	v_add_f16_e32 v30, v25, v13
	v_sub_f16_e32 v6, v7, v6
	v_sub_f16_e32 v7, v25, v13
	v_add_u32_e32 v10, 0, v10
	v_lshlrev_b32_e32 v13, 2, v26
	v_add_f16_e32 v27, v38, v22
	v_add_f16_e32 v36, v29, v31
	v_add3_u32 v10, v10, v13, v17
	v_pack_b32_f16 v8, v8, v41
	v_pack_b32_f16 v13, v14, v24
	v_add_f16_e32 v40, v33, v39
	v_sub_f16_e32 v11, v32, v11
	v_sub_f16_e32 v20, v34, v20
	ds_write2_b32 v10, v8, v13 offset1:6
	v_pack_b32_f16 v8, v27, v35
	v_pack_b32_f16 v13, v36, v15
	v_sub_f16_e32 v12, v37, v12
	v_sub_f16_e32 v22, v38, v22
	;; [unrolled: 1-line block ×5, first 2 shown]
	ds_write2_b32 v10, v8, v13 offset0:12 offset1:18
	v_pack_b32_f16 v8, v40, v30
	v_pack_b32_f16 v11, v11, v20
	ds_write2_b32 v10, v8, v11 offset0:24 offset1:30
	v_pack_b32_f16 v8, v12, v21
	v_pack_b32_f16 v9, v22, v9
	;; [unrolled: 1-line block ×4, first 2 shown]
	ds_write2_b32 v10, v8, v9 offset0:36 offset1:42
	ds_write2_b32 v10, v6, v7 offset0:48 offset1:54
	s_waitcnt lgkmcnt(0)
	; wave barrier
	s_waitcnt lgkmcnt(0)
	global_load_dword v12, v[4:5], off offset:216
	v_lshl_add_u64 v[4:5], v[2:3], 2, s[4:5]
	global_load_dword v3, v[4:5], off offset:264
	global_load_dword v13, v[4:5], off offset:312
	;; [unrolled: 1-line block ×4, first 2 shown]
	ds_read2_b32 v[4:5], v19 offset0:60 offset1:72
	ds_read2_b32 v[6:7], v28 offset0:12 offset1:24
	;; [unrolled: 1-line block ×4, first 2 shown]
	ds_read_b32 v17, v18
	ds_read_b32 v18, v28 offset:432
	s_waitcnt lgkmcnt(0)
	; wave barrier
	s_waitcnt vmcnt(4) lgkmcnt(0)
	v_pk_mul_f16 v20, v12, v4 op_sel:[0,1]
	s_nop 0
	v_pk_fma_f16 v21, v12, v4, v20 op_sel:[0,0,1] op_sel_hi:[1,1,0] neg_lo:[0,0,1] neg_hi:[0,0,1]
	v_pk_fma_f16 v4, v12, v4, v20 op_sel:[0,0,1] op_sel_hi:[1,0,0]
	s_nop 0
	v_bfi_b32 v4, s6, v21, v4
	v_pk_add_f16 v4, v17, v4 neg_lo:[0,1] neg_hi:[0,1]
	s_nop 0
	v_pk_fma_f16 v12, v17, 2.0, v4 op_sel_hi:[1,0,1] neg_lo:[0,0,1] neg_hi:[0,0,1]
	s_waitcnt vmcnt(3)
	v_pk_mul_f16 v17, v3, v5 op_sel:[0,1]
	s_nop 0
	v_pk_fma_f16 v20, v3, v5, v17 op_sel:[0,0,1] op_sel_hi:[1,1,0] neg_lo:[0,0,1] neg_hi:[0,0,1]
	v_pk_fma_f16 v3, v3, v5, v17 op_sel:[0,0,1] op_sel_hi:[1,0,0]
	s_nop 0
	v_bfi_b32 v3, s6, v20, v3
	v_pk_add_f16 v3, v6, v3 neg_lo:[0,1] neg_hi:[0,1]
	s_nop 0
	v_pk_fma_f16 v5, v6, 2.0, v3 op_sel_hi:[1,0,1] neg_lo:[0,0,1] neg_hi:[0,0,1]
	s_waitcnt vmcnt(2)
	v_pk_mul_f16 v6, v13, v8 op_sel:[0,1]
	s_nop 0
	v_pk_fma_f16 v17, v13, v8, v6 op_sel:[0,0,1] op_sel_hi:[1,1,0] neg_lo:[0,0,1] neg_hi:[0,0,1]
	v_pk_fma_f16 v6, v13, v8, v6 op_sel:[0,0,1] op_sel_hi:[1,0,0]
	s_waitcnt vmcnt(1)
	v_pk_mul_f16 v8, v14, v9 op_sel:[0,1]
	v_bfi_b32 v6, s6, v17, v6
	v_pk_fma_f16 v13, v14, v9, v8 op_sel:[0,0,1] op_sel_hi:[1,1,0] neg_lo:[0,0,1] neg_hi:[0,0,1]
	v_pk_fma_f16 v8, v14, v9, v8 op_sel:[0,0,1] op_sel_hi:[1,0,0]
	v_pk_add_f16 v6, v7, v6 neg_lo:[0,1] neg_hi:[0,1]
	v_bfi_b32 v8, s6, v13, v8
	v_pk_add_f16 v8, v10, v8 neg_lo:[0,1] neg_hi:[0,1]
	v_pk_fma_f16 v7, v7, 2.0, v6 op_sel_hi:[1,0,1] neg_lo:[0,0,1] neg_hi:[0,0,1]
	v_pk_fma_f16 v9, v10, 2.0, v8 op_sel_hi:[1,0,1] neg_lo:[0,0,1] neg_hi:[0,0,1]
	s_waitcnt vmcnt(0)
	v_pk_mul_f16 v10, v15, v18 op_sel:[0,1]
	s_nop 0
	v_pk_fma_f16 v13, v15, v18, v10 op_sel:[0,0,1] op_sel_hi:[1,1,0] neg_lo:[0,0,1] neg_hi:[0,0,1]
	v_pk_fma_f16 v10, v15, v18, v10 op_sel:[0,0,1] op_sel_hi:[1,0,0]
	s_nop 0
	v_bfi_b32 v10, s6, v13, v10
	v_pk_add_f16 v10, v11, v10 neg_lo:[0,1] neg_hi:[0,1]
	s_nop 0
	v_pk_fma_f16 v11, v11, 2.0, v10 op_sel_hi:[1,0,1] neg_lo:[0,0,1] neg_hi:[0,0,1]
	ds_write2_b32 v19, v12, v4 offset1:60
	ds_write2_b32 v28, v5, v7 offset0:12 offset1:24
	ds_write2_b32 v28, v3, v6 offset0:72 offset1:84
	;; [unrolled: 1-line block ×4, first 2 shown]
	s_waitcnt lgkmcnt(0)
	; wave barrier
	s_waitcnt lgkmcnt(0)
	s_and_saveexec_b64 s[0:1], vcc
	s_cbranch_execz .LBB0_20
; %bb.19:
	v_lshl_add_u32 v10, v2, 2, v16
	ds_read2_b32 v[4:5], v10 offset1:12
	v_mov_b32_e32 v3, 0
	v_lshl_add_u64 v[8:9], v[2:3], 2, v[0:1]
	v_add_u32_e32 v6, 12, v2
	v_mov_b32_e32 v7, v3
	s_waitcnt lgkmcnt(0)
	global_store_dword v[8:9], v4, off
	ds_read2_b32 v[8:9], v10 offset0:24 offset1:36
	v_lshl_add_u64 v[6:7], v[6:7], 2, v[0:1]
	global_store_dword v[6:7], v5, off
	v_add_u32_e32 v4, 24, v2
	v_mov_b32_e32 v5, v3
	v_lshl_add_u64 v[4:5], v[4:5], 2, v[0:1]
	ds_read2_b32 v[6:7], v10 offset0:48 offset1:60
	s_waitcnt lgkmcnt(1)
	global_store_dword v[4:5], v8, off
	v_add_u32_e32 v4, 36, v2
	v_mov_b32_e32 v5, v3
	v_lshl_add_u64 v[4:5], v[4:5], 2, v[0:1]
	global_store_dword v[4:5], v9, off
	v_add_u32_e32 v4, 48, v2
	v_mov_b32_e32 v5, v3
	v_lshl_add_u64 v[4:5], v[4:5], 2, v[0:1]
	ds_read2_b32 v[8:9], v10 offset0:72 offset1:84
	s_waitcnt lgkmcnt(1)
	global_store_dword v[4:5], v6, off
	v_add_u32_e32 v4, 60, v2
	v_mov_b32_e32 v5, v3
	;; [unrolled: 10-line block ×3, first 2 shown]
	v_lshl_add_u64 v[4:5], v[4:5], 2, v[0:1]
	global_store_dword v[4:5], v9, off
	v_add_u32_e32 v4, 0x60, v2
	v_mov_b32_e32 v5, v3
	v_add_u32_e32 v2, 0x6c, v2
	v_lshl_add_u64 v[4:5], v[4:5], 2, v[0:1]
	v_lshl_add_u64 v[0:1], v[2:3], 2, v[0:1]
	s_waitcnt lgkmcnt(0)
	global_store_dword v[4:5], v6, off
	global_store_dword v[0:1], v7, off
.LBB0_20:
	s_endpgm
	.section	.rodata,"a",@progbits
	.p2align	6, 0x0
	.amdhsa_kernel fft_rtc_fwd_len120_factors_6_10_2_wgs_60_tpt_12_halfLds_half_ip_CI_unitstride_sbrr_C2R_dirReg
		.amdhsa_group_segment_fixed_size 0
		.amdhsa_private_segment_fixed_size 0
		.amdhsa_kernarg_size 88
		.amdhsa_user_sgpr_count 2
		.amdhsa_user_sgpr_dispatch_ptr 0
		.amdhsa_user_sgpr_queue_ptr 0
		.amdhsa_user_sgpr_kernarg_segment_ptr 1
		.amdhsa_user_sgpr_dispatch_id 0
		.amdhsa_user_sgpr_kernarg_preload_length 0
		.amdhsa_user_sgpr_kernarg_preload_offset 0
		.amdhsa_user_sgpr_private_segment_size 0
		.amdhsa_uses_dynamic_stack 0
		.amdhsa_enable_private_segment 0
		.amdhsa_system_sgpr_workgroup_id_x 1
		.amdhsa_system_sgpr_workgroup_id_y 0
		.amdhsa_system_sgpr_workgroup_id_z 0
		.amdhsa_system_sgpr_workgroup_info 0
		.amdhsa_system_vgpr_workitem_id 0
		.amdhsa_next_free_vgpr 59
		.amdhsa_next_free_sgpr 22
		.amdhsa_accum_offset 60
		.amdhsa_reserve_vcc 1
		.amdhsa_float_round_mode_32 0
		.amdhsa_float_round_mode_16_64 0
		.amdhsa_float_denorm_mode_32 3
		.amdhsa_float_denorm_mode_16_64 3
		.amdhsa_dx10_clamp 1
		.amdhsa_ieee_mode 1
		.amdhsa_fp16_overflow 0
		.amdhsa_tg_split 0
		.amdhsa_exception_fp_ieee_invalid_op 0
		.amdhsa_exception_fp_denorm_src 0
		.amdhsa_exception_fp_ieee_div_zero 0
		.amdhsa_exception_fp_ieee_overflow 0
		.amdhsa_exception_fp_ieee_underflow 0
		.amdhsa_exception_fp_ieee_inexact 0
		.amdhsa_exception_int_div_zero 0
	.end_amdhsa_kernel
	.text
.Lfunc_end0:
	.size	fft_rtc_fwd_len120_factors_6_10_2_wgs_60_tpt_12_halfLds_half_ip_CI_unitstride_sbrr_C2R_dirReg, .Lfunc_end0-fft_rtc_fwd_len120_factors_6_10_2_wgs_60_tpt_12_halfLds_half_ip_CI_unitstride_sbrr_C2R_dirReg
                                        ; -- End function
	.section	.AMDGPU.csdata,"",@progbits
; Kernel info:
; codeLenInByte = 5508
; NumSgprs: 28
; NumVgprs: 59
; NumAgprs: 0
; TotalNumVgprs: 59
; ScratchSize: 0
; MemoryBound: 0
; FloatMode: 240
; IeeeMode: 1
; LDSByteSize: 0 bytes/workgroup (compile time only)
; SGPRBlocks: 3
; VGPRBlocks: 7
; NumSGPRsForWavesPerEU: 28
; NumVGPRsForWavesPerEU: 59
; AccumOffset: 60
; Occupancy: 8
; WaveLimiterHint : 1
; COMPUTE_PGM_RSRC2:SCRATCH_EN: 0
; COMPUTE_PGM_RSRC2:USER_SGPR: 2
; COMPUTE_PGM_RSRC2:TRAP_HANDLER: 0
; COMPUTE_PGM_RSRC2:TGID_X_EN: 1
; COMPUTE_PGM_RSRC2:TGID_Y_EN: 0
; COMPUTE_PGM_RSRC2:TGID_Z_EN: 0
; COMPUTE_PGM_RSRC2:TIDIG_COMP_CNT: 0
; COMPUTE_PGM_RSRC3_GFX90A:ACCUM_OFFSET: 14
; COMPUTE_PGM_RSRC3_GFX90A:TG_SPLIT: 0
	.text
	.p2alignl 6, 3212836864
	.fill 256, 4, 3212836864
	.type	__hip_cuid_e1990846377814e7,@object ; @__hip_cuid_e1990846377814e7
	.section	.bss,"aw",@nobits
	.globl	__hip_cuid_e1990846377814e7
__hip_cuid_e1990846377814e7:
	.byte	0                               ; 0x0
	.size	__hip_cuid_e1990846377814e7, 1

	.ident	"AMD clang version 19.0.0git (https://github.com/RadeonOpenCompute/llvm-project roc-6.4.0 25133 c7fe45cf4b819c5991fe208aaa96edf142730f1d)"
	.section	".note.GNU-stack","",@progbits
	.addrsig
	.addrsig_sym __hip_cuid_e1990846377814e7
	.amdgpu_metadata
---
amdhsa.kernels:
  - .agpr_count:     0
    .args:
      - .actual_access:  read_only
        .address_space:  global
        .offset:         0
        .size:           8
        .value_kind:     global_buffer
      - .offset:         8
        .size:           8
        .value_kind:     by_value
      - .actual_access:  read_only
        .address_space:  global
        .offset:         16
        .size:           8
        .value_kind:     global_buffer
      - .actual_access:  read_only
        .address_space:  global
        .offset:         24
        .size:           8
        .value_kind:     global_buffer
      - .offset:         32
        .size:           8
        .value_kind:     by_value
      - .actual_access:  read_only
        .address_space:  global
        .offset:         40
        .size:           8
        .value_kind:     global_buffer
      - .actual_access:  read_only
        .address_space:  global
        .offset:         48
        .size:           8
        .value_kind:     global_buffer
      - .offset:         56
        .size:           4
        .value_kind:     by_value
      - .actual_access:  read_only
        .address_space:  global
        .offset:         64
        .size:           8
        .value_kind:     global_buffer
      - .actual_access:  read_only
        .address_space:  global
        .offset:         72
        .size:           8
        .value_kind:     global_buffer
      - .address_space:  global
        .offset:         80
        .size:           8
        .value_kind:     global_buffer
    .group_segment_fixed_size: 0
    .kernarg_segment_align: 8
    .kernarg_segment_size: 88
    .language:       OpenCL C
    .language_version:
      - 2
      - 0
    .max_flat_workgroup_size: 60
    .name:           fft_rtc_fwd_len120_factors_6_10_2_wgs_60_tpt_12_halfLds_half_ip_CI_unitstride_sbrr_C2R_dirReg
    .private_segment_fixed_size: 0
    .sgpr_count:     28
    .sgpr_spill_count: 0
    .symbol:         fft_rtc_fwd_len120_factors_6_10_2_wgs_60_tpt_12_halfLds_half_ip_CI_unitstride_sbrr_C2R_dirReg.kd
    .uniform_work_group_size: 1
    .uses_dynamic_stack: false
    .vgpr_count:     59
    .vgpr_spill_count: 0
    .wavefront_size: 64
amdhsa.target:   amdgcn-amd-amdhsa--gfx950
amdhsa.version:
  - 1
  - 2
...

	.end_amdgpu_metadata
